;; amdgpu-corpus repo=ROCm/rocFFT kind=compiled arch=gfx1201 opt=O3
	.text
	.amdgcn_target "amdgcn-amd-amdhsa--gfx1201"
	.amdhsa_code_object_version 6
	.protected	fft_rtc_back_len130_factors_13_10_wgs_52_tpt_13_dp_ip_CI_sbrr_dirReg ; -- Begin function fft_rtc_back_len130_factors_13_10_wgs_52_tpt_13_dp_ip_CI_sbrr_dirReg
	.globl	fft_rtc_back_len130_factors_13_10_wgs_52_tpt_13_dp_ip_CI_sbrr_dirReg
	.p2align	8
	.type	fft_rtc_back_len130_factors_13_10_wgs_52_tpt_13_dp_ip_CI_sbrr_dirReg,@function
fft_rtc_back_len130_factors_13_10_wgs_52_tpt_13_dp_ip_CI_sbrr_dirReg: ; @fft_rtc_back_len130_factors_13_10_wgs_52_tpt_13_dp_ip_CI_sbrr_dirReg
; %bb.0:
	s_clause 0x2
	s_load_b64 s[12:13], s[0:1], 0x18
	s_load_b128 s[4:7], s[0:1], 0x0
	s_load_b64 s[10:11], s[0:1], 0x50
	v_mul_u32_u24_e32 v1, 0x13b2, v0
	v_mov_b32_e32 v3, 0
	s_delay_alu instid0(VALU_DEP_2) | instskip(SKIP_2) | instid1(VALU_DEP_4)
	v_lshrrev_b32_e32 v9, 16, v1
	v_mov_b32_e32 v1, 0
	v_mov_b32_e32 v2, 0
	;; [unrolled: 1-line block ×3, first 2 shown]
	s_delay_alu instid0(VALU_DEP_4) | instskip(SKIP_3) | instid1(VALU_DEP_1)
	v_lshl_add_u32 v5, ttmp9, 2, v9
	s_wait_kmcnt 0x0
	s_load_b64 s[8:9], s[12:13], 0x0
	v_cmp_lt_u64_e64 s2, s[6:7], 2
	s_and_b32 vcc_lo, exec_lo, s2
	s_cbranch_vccnz .LBB0_8
; %bb.1:
	s_load_b64 s[2:3], s[0:1], 0x10
	v_mov_b32_e32 v1, 0
	v_mov_b32_e32 v2, 0
	s_add_nc_u64 s[14:15], s[12:13], 8
	s_mov_b64 s[16:17], 1
	s_wait_kmcnt 0x0
	s_add_nc_u64 s[18:19], s[2:3], 8
	s_mov_b32 s3, 0
.LBB0_2:                                ; =>This Inner Loop Header: Depth=1
	s_load_b64 s[20:21], s[18:19], 0x0
                                        ; implicit-def: $vgpr7_vgpr8
	s_mov_b32 s2, exec_lo
	s_wait_kmcnt 0x0
	v_or_b32_e32 v4, s21, v6
	s_delay_alu instid0(VALU_DEP_1)
	v_cmpx_ne_u64_e32 0, v[3:4]
	s_wait_alu 0xfffe
	s_xor_b32 s22, exec_lo, s2
	s_cbranch_execz .LBB0_4
; %bb.3:                                ;   in Loop: Header=BB0_2 Depth=1
	s_cvt_f32_u32 s2, s20
	s_cvt_f32_u32 s23, s21
	s_sub_nc_u64 s[26:27], 0, s[20:21]
	s_wait_alu 0xfffe
	s_delay_alu instid0(SALU_CYCLE_1) | instskip(SKIP_1) | instid1(SALU_CYCLE_2)
	s_fmamk_f32 s2, s23, 0x4f800000, s2
	s_wait_alu 0xfffe
	v_s_rcp_f32 s2, s2
	s_delay_alu instid0(TRANS32_DEP_1) | instskip(SKIP_1) | instid1(SALU_CYCLE_2)
	s_mul_f32 s2, s2, 0x5f7ffffc
	s_wait_alu 0xfffe
	s_mul_f32 s23, s2, 0x2f800000
	s_wait_alu 0xfffe
	s_delay_alu instid0(SALU_CYCLE_2) | instskip(SKIP_1) | instid1(SALU_CYCLE_2)
	s_trunc_f32 s23, s23
	s_wait_alu 0xfffe
	s_fmamk_f32 s2, s23, 0xcf800000, s2
	s_cvt_u32_f32 s25, s23
	s_wait_alu 0xfffe
	s_delay_alu instid0(SALU_CYCLE_1) | instskip(SKIP_1) | instid1(SALU_CYCLE_2)
	s_cvt_u32_f32 s24, s2
	s_wait_alu 0xfffe
	s_mul_u64 s[28:29], s[26:27], s[24:25]
	s_wait_alu 0xfffe
	s_mul_hi_u32 s31, s24, s29
	s_mul_i32 s30, s24, s29
	s_mul_hi_u32 s2, s24, s28
	s_mul_i32 s33, s25, s28
	s_wait_alu 0xfffe
	s_add_nc_u64 s[30:31], s[2:3], s[30:31]
	s_mul_hi_u32 s23, s25, s28
	s_mul_hi_u32 s34, s25, s29
	s_add_co_u32 s2, s30, s33
	s_wait_alu 0xfffe
	s_add_co_ci_u32 s2, s31, s23
	s_mul_i32 s28, s25, s29
	s_add_co_ci_u32 s29, s34, 0
	s_wait_alu 0xfffe
	s_add_nc_u64 s[28:29], s[2:3], s[28:29]
	s_wait_alu 0xfffe
	v_add_co_u32 v4, s2, s24, s28
	s_delay_alu instid0(VALU_DEP_1) | instskip(SKIP_1) | instid1(VALU_DEP_1)
	s_cmp_lg_u32 s2, 0
	s_add_co_ci_u32 s25, s25, s29
	v_readfirstlane_b32 s24, v4
	s_wait_alu 0xfffe
	s_delay_alu instid0(VALU_DEP_1)
	s_mul_u64 s[26:27], s[26:27], s[24:25]
	s_wait_alu 0xfffe
	s_mul_hi_u32 s29, s24, s27
	s_mul_i32 s28, s24, s27
	s_mul_hi_u32 s2, s24, s26
	s_mul_i32 s30, s25, s26
	s_wait_alu 0xfffe
	s_add_nc_u64 s[28:29], s[2:3], s[28:29]
	s_mul_hi_u32 s23, s25, s26
	s_mul_hi_u32 s24, s25, s27
	s_wait_alu 0xfffe
	s_add_co_u32 s2, s28, s30
	s_add_co_ci_u32 s2, s29, s23
	s_mul_i32 s26, s25, s27
	s_add_co_ci_u32 s27, s24, 0
	s_wait_alu 0xfffe
	s_add_nc_u64 s[26:27], s[2:3], s[26:27]
	s_wait_alu 0xfffe
	v_add_co_u32 v4, s2, v4, s26
	s_delay_alu instid0(VALU_DEP_1) | instskip(SKIP_1) | instid1(VALU_DEP_1)
	s_cmp_lg_u32 s2, 0
	s_add_co_ci_u32 s2, s25, s27
	v_mul_hi_u32 v14, v5, v4
	s_wait_alu 0xfffe
	v_mad_co_u64_u32 v[7:8], null, v5, s2, 0
	v_mad_co_u64_u32 v[10:11], null, v6, v4, 0
	;; [unrolled: 1-line block ×3, first 2 shown]
	s_delay_alu instid0(VALU_DEP_3) | instskip(SKIP_1) | instid1(VALU_DEP_4)
	v_add_co_u32 v4, vcc_lo, v14, v7
	s_wait_alu 0xfffd
	v_add_co_ci_u32_e32 v7, vcc_lo, 0, v8, vcc_lo
	s_delay_alu instid0(VALU_DEP_2) | instskip(SKIP_1) | instid1(VALU_DEP_2)
	v_add_co_u32 v4, vcc_lo, v4, v10
	s_wait_alu 0xfffd
	v_add_co_ci_u32_e32 v4, vcc_lo, v7, v11, vcc_lo
	s_wait_alu 0xfffd
	v_add_co_ci_u32_e32 v7, vcc_lo, 0, v13, vcc_lo
	s_delay_alu instid0(VALU_DEP_2) | instskip(SKIP_1) | instid1(VALU_DEP_2)
	v_add_co_u32 v4, vcc_lo, v4, v12
	s_wait_alu 0xfffd
	v_add_co_ci_u32_e32 v10, vcc_lo, 0, v7, vcc_lo
	s_delay_alu instid0(VALU_DEP_2) | instskip(SKIP_1) | instid1(VALU_DEP_3)
	v_mul_lo_u32 v11, s21, v4
	v_mad_co_u64_u32 v[7:8], null, s20, v4, 0
	v_mul_lo_u32 v12, s20, v10
	s_delay_alu instid0(VALU_DEP_2) | instskip(NEXT) | instid1(VALU_DEP_2)
	v_sub_co_u32 v7, vcc_lo, v5, v7
	v_add3_u32 v8, v8, v12, v11
	s_delay_alu instid0(VALU_DEP_1) | instskip(SKIP_1) | instid1(VALU_DEP_1)
	v_sub_nc_u32_e32 v11, v6, v8
	s_wait_alu 0xfffd
	v_subrev_co_ci_u32_e64 v11, s2, s21, v11, vcc_lo
	v_add_co_u32 v12, s2, v4, 2
	s_wait_alu 0xf1ff
	v_add_co_ci_u32_e64 v13, s2, 0, v10, s2
	v_sub_co_u32 v14, s2, v7, s20
	v_sub_co_ci_u32_e32 v8, vcc_lo, v6, v8, vcc_lo
	s_wait_alu 0xf1ff
	v_subrev_co_ci_u32_e64 v11, s2, 0, v11, s2
	s_delay_alu instid0(VALU_DEP_3) | instskip(NEXT) | instid1(VALU_DEP_3)
	v_cmp_le_u32_e32 vcc_lo, s20, v14
	v_cmp_eq_u32_e64 s2, s21, v8
	s_wait_alu 0xfffd
	v_cndmask_b32_e64 v14, 0, -1, vcc_lo
	v_cmp_le_u32_e32 vcc_lo, s21, v11
	s_wait_alu 0xfffd
	v_cndmask_b32_e64 v15, 0, -1, vcc_lo
	v_cmp_le_u32_e32 vcc_lo, s20, v7
	;; [unrolled: 3-line block ×3, first 2 shown]
	s_wait_alu 0xfffd
	v_cndmask_b32_e64 v16, 0, -1, vcc_lo
	v_cmp_eq_u32_e32 vcc_lo, s21, v11
	s_wait_alu 0xf1ff
	s_delay_alu instid0(VALU_DEP_2)
	v_cndmask_b32_e64 v7, v16, v7, s2
	s_wait_alu 0xfffd
	v_cndmask_b32_e32 v11, v15, v14, vcc_lo
	v_add_co_u32 v14, vcc_lo, v4, 1
	s_wait_alu 0xfffd
	v_add_co_ci_u32_e32 v15, vcc_lo, 0, v10, vcc_lo
	s_delay_alu instid0(VALU_DEP_3) | instskip(SKIP_1) | instid1(VALU_DEP_2)
	v_cmp_ne_u32_e32 vcc_lo, 0, v11
	s_wait_alu 0xfffd
	v_dual_cndmask_b32 v8, v15, v13 :: v_dual_cndmask_b32 v11, v14, v12
	v_cmp_ne_u32_e32 vcc_lo, 0, v7
	s_wait_alu 0xfffd
	s_delay_alu instid0(VALU_DEP_2)
	v_dual_cndmask_b32 v8, v10, v8 :: v_dual_cndmask_b32 v7, v4, v11
.LBB0_4:                                ;   in Loop: Header=BB0_2 Depth=1
	s_wait_alu 0xfffe
	s_and_not1_saveexec_b32 s2, s22
	s_cbranch_execz .LBB0_6
; %bb.5:                                ;   in Loop: Header=BB0_2 Depth=1
	v_cvt_f32_u32_e32 v4, s20
	s_sub_co_i32 s22, 0, s20
	s_delay_alu instid0(VALU_DEP_1) | instskip(NEXT) | instid1(TRANS32_DEP_1)
	v_rcp_iflag_f32_e32 v4, v4
	v_mul_f32_e32 v4, 0x4f7ffffe, v4
	s_delay_alu instid0(VALU_DEP_1) | instskip(SKIP_1) | instid1(VALU_DEP_1)
	v_cvt_u32_f32_e32 v4, v4
	s_wait_alu 0xfffe
	v_mul_lo_u32 v7, s22, v4
	s_delay_alu instid0(VALU_DEP_1) | instskip(NEXT) | instid1(VALU_DEP_1)
	v_mul_hi_u32 v7, v4, v7
	v_add_nc_u32_e32 v4, v4, v7
	s_delay_alu instid0(VALU_DEP_1) | instskip(NEXT) | instid1(VALU_DEP_1)
	v_mul_hi_u32 v4, v5, v4
	v_mul_lo_u32 v7, v4, s20
	v_add_nc_u32_e32 v8, 1, v4
	s_delay_alu instid0(VALU_DEP_2) | instskip(NEXT) | instid1(VALU_DEP_1)
	v_sub_nc_u32_e32 v7, v5, v7
	v_subrev_nc_u32_e32 v10, s20, v7
	v_cmp_le_u32_e32 vcc_lo, s20, v7
	s_wait_alu 0xfffd
	s_delay_alu instid0(VALU_DEP_2) | instskip(NEXT) | instid1(VALU_DEP_1)
	v_dual_cndmask_b32 v7, v7, v10 :: v_dual_cndmask_b32 v4, v4, v8
	v_cmp_le_u32_e32 vcc_lo, s20, v7
	s_delay_alu instid0(VALU_DEP_2) | instskip(SKIP_1) | instid1(VALU_DEP_1)
	v_add_nc_u32_e32 v8, 1, v4
	s_wait_alu 0xfffd
	v_dual_cndmask_b32 v7, v4, v8 :: v_dual_mov_b32 v8, v3
.LBB0_6:                                ;   in Loop: Header=BB0_2 Depth=1
	s_wait_alu 0xfffe
	s_or_b32 exec_lo, exec_lo, s2
	s_load_b64 s[22:23], s[14:15], 0x0
	s_delay_alu instid0(VALU_DEP_1)
	v_mul_lo_u32 v4, v8, s20
	v_mul_lo_u32 v12, v7, s21
	v_mad_co_u64_u32 v[10:11], null, v7, s20, 0
	s_add_nc_u64 s[16:17], s[16:17], 1
	s_add_nc_u64 s[14:15], s[14:15], 8
	s_wait_alu 0xfffe
	v_cmp_ge_u64_e64 s2, s[16:17], s[6:7]
	s_add_nc_u64 s[18:19], s[18:19], 8
	s_delay_alu instid0(VALU_DEP_2) | instskip(NEXT) | instid1(VALU_DEP_3)
	v_add3_u32 v4, v11, v12, v4
	v_sub_co_u32 v5, vcc_lo, v5, v10
	s_wait_alu 0xfffd
	s_delay_alu instid0(VALU_DEP_2) | instskip(SKIP_3) | instid1(VALU_DEP_2)
	v_sub_co_ci_u32_e32 v4, vcc_lo, v6, v4, vcc_lo
	s_and_b32 vcc_lo, exec_lo, s2
	s_wait_kmcnt 0x0
	v_mul_lo_u32 v6, s23, v5
	v_mul_lo_u32 v4, s22, v4
	v_mad_co_u64_u32 v[1:2], null, s22, v5, v[1:2]
	s_delay_alu instid0(VALU_DEP_1)
	v_add3_u32 v2, v6, v2, v4
	s_wait_alu 0xfffe
	s_cbranch_vccnz .LBB0_9
; %bb.7:                                ;   in Loop: Header=BB0_2 Depth=1
	v_dual_mov_b32 v5, v7 :: v_dual_mov_b32 v6, v8
	s_branch .LBB0_2
.LBB0_8:
	v_dual_mov_b32 v8, v6 :: v_dual_mov_b32 v7, v5
.LBB0_9:
	s_lshl_b64 s[2:3], s[6:7], 3
	v_mul_hi_u32 v3, 0x13b13b14, v0
	s_wait_alu 0xfffe
	s_add_nc_u64 s[2:3], s[12:13], s[2:3]
	s_load_b64 s[0:1], s[0:1], 0x20
	s_load_b64 s[2:3], s[2:3], 0x0
	v_and_b32_e32 v4, 3, v9
	s_delay_alu instid0(VALU_DEP_2) | instskip(NEXT) | instid1(VALU_DEP_2)
	v_mul_u32_u24_e32 v3, 13, v3
	v_mul_u32_u24_e32 v4, 0x82, v4
	s_delay_alu instid0(VALU_DEP_2) | instskip(NEXT) | instid1(VALU_DEP_2)
	v_sub_nc_u32_e32 v88, v0, v3
	v_lshlrev_b32_e32 v92, 4, v4
	s_delay_alu instid0(VALU_DEP_2)
	v_lshlrev_b32_e32 v0, 4, v88
	v_add_nc_u32_e32 v89, 13, v88
	v_add_nc_u32_e32 v87, 26, v88
	;; [unrolled: 1-line block ×3, first 2 shown]
	s_wait_kmcnt 0x0
	v_cmp_gt_u64_e32 vcc_lo, s[0:1], v[7:8]
	v_mul_lo_u32 v3, s2, v8
	v_mul_lo_u32 v5, s3, v7
	v_mad_co_u64_u32 v[1:2], null, s2, v7, v[1:2]
	v_add_nc_u32_e32 v86, 52, v88
	v_add_nc_u32_e32 v84, 0x41, v88
	v_add_nc_u32_e32 v83, 0x4e, v88
	v_add_nc_u32_e32 v81, 0x5b, v88
	v_add_nc_u32_e32 v82, 0x68, v88
	v_add_nc_u32_e32 v80, 0x75, v88
	v_add3_u32 v2, v5, v2, v3
	s_delay_alu instid0(VALU_DEP_1)
	v_lshlrev_b64_e32 v[52:53], 4, v[1:2]
	s_and_saveexec_b32 s1, vcc_lo
	s_cbranch_execz .LBB0_11
; %bb.10:
	v_mad_co_u64_u32 v[1:2], null, s8, v88, 0
	v_mad_co_u64_u32 v[3:4], null, s8, v89, 0
	v_mad_co_u64_u32 v[5:6], null, s8, v87, 0
	v_mad_co_u64_u32 v[7:8], null, s8, v85, 0
	v_mad_co_u64_u32 v[17:18], null, s8, v86, 0
	s_delay_alu instid0(VALU_DEP_4) | instskip(NEXT) | instid1(VALU_DEP_4)
	v_mad_co_u64_u32 v[9:10], null, s9, v88, v[2:3]
	v_mad_co_u64_u32 v[10:11], null, s9, v89, v[4:5]
	s_delay_alu instid0(VALU_DEP_4) | instskip(SKIP_1) | instid1(VALU_DEP_4)
	v_mad_co_u64_u32 v[11:12], null, s9, v87, v[6:7]
	v_mad_co_u64_u32 v[19:20], null, s8, v84, 0
	v_mov_b32_e32 v2, v9
	v_mad_co_u64_u32 v[8:9], null, s9, v85, v[8:9]
	v_dual_mov_b32 v9, v18 :: v_dual_mov_b32 v4, v10
	s_delay_alu instid0(VALU_DEP_3) | instskip(SKIP_4) | instid1(VALU_DEP_3)
	v_lshlrev_b64_e32 v[1:2], 4, v[1:2]
	v_add_co_u32 v39, s0, s10, v52
	s_wait_alu 0xf1ff
	v_add_co_ci_u32_e64 v40, s0, s11, v53, s0
	v_lshlrev_b64_e32 v[3:4], 4, v[3:4]
	v_add_co_u32 v1, s0, v39, v1
	v_mov_b32_e32 v6, v11
	s_wait_alu 0xf1ff
	v_add_co_ci_u32_e64 v2, s0, v40, v2, s0
	s_delay_alu instid0(VALU_DEP_4)
	v_add_co_u32 v10, s0, v39, v3
	s_wait_alu 0xf1ff
	v_add_co_ci_u32_e64 v11, s0, v40, v4, s0
	v_lshlrev_b64_e32 v[3:4], 4, v[5:6]
	v_mad_co_u64_u32 v[21:22], null, s8, v83, 0
	v_lshlrev_b64_e32 v[5:6], 4, v[7:8]
	v_mad_co_u64_u32 v[7:8], null, s9, v86, v[9:10]
	s_delay_alu instid0(VALU_DEP_4) | instskip(SKIP_4) | instid1(VALU_DEP_3)
	v_add_co_u32 v12, s0, v39, v3
	v_mov_b32_e32 v3, v20
	s_wait_alu 0xf1ff
	v_add_co_ci_u32_e64 v13, s0, v40, v4, s0
	v_add_co_u32 v14, s0, v39, v5
	v_mad_co_u64_u32 v[23:24], null, s9, v84, v[3:4]
	v_mad_co_u64_u32 v[24:25], null, s8, v81, 0
	s_wait_alu 0xf1ff
	v_add_co_ci_u32_e64 v15, s0, v40, v6, s0
	v_add3_u32 v41, 0, v92, v0
	s_delay_alu instid0(VALU_DEP_3) | instskip(NEXT) | instid1(VALU_DEP_1)
	v_dual_mov_b32 v20, v23 :: v_dual_mov_b32 v23, v25
	v_mad_co_u64_u32 v[25:26], null, s9, v83, v[22:23]
	v_mad_co_u64_u32 v[26:27], null, s8, v82, 0
	v_mov_b32_e32 v18, v7
	v_mad_co_u64_u32 v[28:29], null, s9, v81, v[23:24]
	v_mad_co_u64_u32 v[29:30], null, s8, v80, 0
	s_delay_alu instid0(VALU_DEP_4) | instskip(NEXT) | instid1(VALU_DEP_4)
	v_dual_mov_b32 v22, v25 :: v_dual_mov_b32 v23, v27
	v_lshlrev_b64_e32 v[17:18], 4, v[17:18]
	s_clause 0x3
	global_load_b128 v[1:4], v[1:2], off
	global_load_b128 v[5:8], v[10:11], off
	;; [unrolled: 1-line block ×4, first 2 shown]
	v_mov_b32_e32 v25, v28
	v_lshlrev_b64_e32 v[19:20], 4, v[19:20]
	v_mad_co_u64_u32 v[27:28], null, s9, v82, v[23:24]
	v_mov_b32_e32 v23, v30
	v_add_co_u32 v17, s0, v39, v17
	s_wait_alu 0xf1ff
	v_add_co_ci_u32_e64 v18, s0, v40, v18, s0
	v_add_co_u32 v31, s0, v39, v19
	s_wait_alu 0xf1ff
	v_add_co_ci_u32_e64 v32, s0, v40, v20, s0
	v_lshlrev_b64_e32 v[19:20], 4, v[21:22]
	v_mad_co_u64_u32 v[21:22], null, s9, v80, v[23:24]
	v_lshlrev_b64_e32 v[22:23], 4, v[24:25]
	s_delay_alu instid0(VALU_DEP_3) | instskip(SKIP_1) | instid1(VALU_DEP_4)
	v_add_co_u32 v33, s0, v39, v19
	s_wait_alu 0xf1ff
	v_add_co_ci_u32_e64 v34, s0, v40, v20, s0
	s_delay_alu instid0(VALU_DEP_4)
	v_mov_b32_e32 v30, v21
	v_lshlrev_b64_e32 v[19:20], 4, v[26:27]
	v_add_co_u32 v35, s0, v39, v22
	s_wait_alu 0xf1ff
	v_add_co_ci_u32_e64 v36, s0, v40, v23, s0
	v_lshlrev_b64_e32 v[21:22], 4, v[29:30]
	s_delay_alu instid0(VALU_DEP_4) | instskip(SKIP_2) | instid1(VALU_DEP_3)
	v_add_co_u32 v37, s0, v39, v19
	s_wait_alu 0xf1ff
	v_add_co_ci_u32_e64 v38, s0, v40, v20, s0
	v_add_co_u32 v39, s0, v39, v21
	s_wait_alu 0xf1ff
	v_add_co_ci_u32_e64 v40, s0, v40, v22, s0
	s_clause 0x5
	global_load_b128 v[17:20], v[17:18], off
	global_load_b128 v[21:24], v[31:32], off
	;; [unrolled: 1-line block ×6, first 2 shown]
	s_wait_loadcnt 0x9
	ds_store_b128 v41, v[1:4]
	s_wait_loadcnt 0x8
	ds_store_b128 v41, v[5:8] offset:208
	s_wait_loadcnt 0x7
	ds_store_b128 v41, v[9:12] offset:416
	;; [unrolled: 2-line block ×9, first 2 shown]
.LBB0_11:
	s_wait_alu 0xfffe
	s_or_b32 exec_lo, exec_lo, s1
	v_add3_u32 v90, 0, v92, v0
	v_add3_u32 v91, 0, v0, v92
	global_wb scope:SCOPE_SE
	s_wait_dscnt 0x0
	s_barrier_signal -1
	s_barrier_wait -1
	global_inv scope:SCOPE_SE
	ds_load_b128 v[24:27], v90
	ds_load_b128 v[48:51], v91 offset:160
	ds_load_b128 v[44:47], v91 offset:320
	;; [unrolled: 1-line block ×12, first 2 shown]
	s_mov_b32 s33, exec_lo
	global_wb scope:SCOPE_SE
	s_wait_dscnt 0x0
	s_barrier_signal -1
	s_barrier_wait -1
	global_inv scope:SCOPE_SE
	v_cmpx_gt_u32_e32 10, v88
	s_cbranch_execz .LBB0_13
; %bb.12:
	v_add_f64_e32 v[60:61], v[26:27], v[50:51]
	v_add_f64_e32 v[66:67], v[24:25], v[48:49]
	v_add_f64_e64 v[76:77], v[48:49], -v[0:1]
	v_add_f64_e64 v[78:79], v[50:51], -v[2:3]
	s_mov_b32 s14, 0x4bc48dbf
	v_add_f64_e64 v[93:94], v[44:45], -v[4:5]
	v_add_f64_e64 v[95:96], v[46:47], -v[6:7]
	;; [unrolled: 1-line block ×10, first 2 shown]
	s_mov_b32 s16, 0x24c2f84
	s_mov_b32 s15, 0xbfcea1e5
	;; [unrolled: 1-line block ×3, first 2 shown]
	v_add_f64_e32 v[70:71], v[50:51], v[2:3]
	v_add_f64_e32 v[72:73], v[48:49], v[0:1]
	v_add_f64_e32 v[68:69], v[36:37], v[12:13]
	s_mov_b32 s27, 0x3fddbe06
	s_mov_b32 s26, 0x4267c47c
	;; [unrolled: 1-line block ×13, first 2 shown]
	v_add_f64_e32 v[109:110], v[42:43], v[10:11]
	v_add_f64_e32 v[74:75], v[40:41], v[8:9]
	s_mov_b32 s41, 0x3fedeba7
	s_mov_b32 s28, s18
	v_add_f64_e32 v[105:106], v[60:61], v[46:47]
	v_add_f64_e32 v[107:108], v[66:67], v[44:45]
	;; [unrolled: 1-line block ×3, first 2 shown]
	v_mul_f64_e32 v[115:116], s[14:15], v[76:77]
	v_mul_f64_e32 v[117:118], s[14:15], v[78:79]
	s_wait_alu 0xfffe
	v_mul_f64_e32 v[123:124], s[16:17], v[76:77]
	v_mul_f64_e32 v[125:126], s[16:17], v[78:79]
	s_mov_b32 s34, s24
	s_mov_b32 s40, s30
	v_mul_f64_e32 v[111:112], s[26:27], v[93:94]
	v_mul_f64_e32 v[113:114], s[26:27], v[95:96]
	;; [unrolled: 1-line block ×8, first 2 shown]
	s_mov_b32 s3, 0xbfe7f3cc
	v_add_f64_e32 v[60:61], v[34:35], v[18:19]
	v_add_f64_e32 v[48:49], v[32:33], v[16:17]
	;; [unrolled: 1-line block ×4, first 2 shown]
	v_mul_f64_e32 v[131:132], s[30:31], v[76:77]
	v_mul_f64_e32 v[133:134], s[30:31], v[78:79]
	;; [unrolled: 1-line block ×13, first 2 shown]
	s_mov_b32 s22, 0xebaa3ed8
	s_mov_b32 s20, 0xb2365da1
	;; [unrolled: 1-line block ×3, first 2 shown]
	v_add_f64_e32 v[105:106], v[105:106], v[42:43]
	v_add_f64_e32 v[107:108], v[107:108], v[40:41]
	v_mul_f64_e32 v[42:43], s[26:27], v[58:59]
	v_mul_f64_e32 v[40:41], s[26:27], v[56:57]
	s_mov_b32 s27, 0xbfddbe06
	v_fma_f64 v[215:216], v[70:71], s[0:1], v[115:116]
	s_wait_alu 0xfffe
	v_mul_f64_e32 v[76:77], s[26:27], v[76:77]
	v_mul_f64_e32 v[78:79], s[26:27], v[78:79]
	v_fma_f64 v[217:218], v[72:73], s[0:1], -v[117:118]
	v_fma_f64 v[115:116], v[70:71], s[0:1], -v[115:116]
	v_fma_f64 v[117:118], v[72:73], s[0:1], v[117:118]
	v_fma_f64 v[219:220], v[70:71], s[2:3], v[123:124]
	v_fma_f64 v[221:222], v[72:73], s[2:3], -v[125:126]
	v_fma_f64 v[125:126], v[72:73], s[2:3], v[125:126]
	s_mov_b32 s12, 0xe00740e9
	s_mov_b32 s23, 0x3fbedb7d
	;; [unrolled: 1-line block ×7, first 2 shown]
	v_add_f64_e32 v[54:55], v[30:31], v[22:23]
	v_add_f64_e32 v[50:51], v[28:29], v[20:21]
	v_mul_f64_e32 v[165:166], s[38:39], v[93:94]
	v_mul_f64_e32 v[167:168], s[14:15], v[93:94]
	;; [unrolled: 1-line block ×6, first 2 shown]
	v_fma_f64 v[123:124], v[70:71], s[2:3], -v[123:124]
	s_wait_alu 0xfffe
	v_fma_f64 v[223:224], v[70:71], s[22:23], v[139:140]
	v_fma_f64 v[225:226], v[72:73], s[22:23], -v[141:142]
	v_fma_f64 v[139:140], v[70:71], s[22:23], -v[139:140]
	v_fma_f64 v[141:142], v[72:73], s[22:23], v[141:142]
	v_fma_f64 v[227:228], v[70:71], s[6:7], v[143:144]
	v_fma_f64 v[229:230], v[72:73], s[6:7], -v[145:146]
	v_fma_f64 v[143:144], v[70:71], s[6:7], -v[143:144]
	v_fma_f64 v[145:146], v[72:73], s[6:7], v[145:146]
	v_add_f64_e32 v[38:39], v[105:106], v[38:39]
	v_add_f64_e32 v[36:37], v[107:108], v[36:37]
	v_mul_f64_e32 v[105:106], s[38:39], v[95:96]
	v_mul_f64_e32 v[107:108], s[14:15], v[95:96]
	v_fma_f64 v[231:232], v[109:110], s[2:3], v[147:148]
	v_fma_f64 v[147:148], v[109:110], s[2:3], -v[147:148]
	v_fma_f64 v[233:234], v[109:110], s[6:7], v[153:154]
	v_fma_f64 v[153:154], v[109:110], s[6:7], -v[153:154]
	;; [unrolled: 2-line block ×7, first 2 shown]
	v_add_f64_e32 v[115:116], v[26:27], v[115:116]
	v_add_f64_e32 v[117:118], v[24:25], v[117:118]
	v_mul_f64_e32 v[177:178], s[28:29], v[99:100]
	v_add_f64_e32 v[219:220], v[26:27], v[219:220]
	v_add_f64_e32 v[221:222], v[24:25], v[221:222]
	;; [unrolled: 1-line block ×3, first 2 shown]
	v_mul_f64_e32 v[95:96], s[28:29], v[95:96]
	s_mov_b32 s37, 0x3fcea1e5
	s_mov_b32 s36, s14
	v_mul_f64_e32 v[179:180], s[40:41], v[99:100]
	v_mul_f64_e32 v[181:182], s[14:15], v[99:100]
	;; [unrolled: 1-line block ×3, first 2 shown]
	v_fma_f64 v[245:246], v[46:47], s[2:3], v[165:166]
	v_fma_f64 v[165:166], v[46:47], s[2:3], -v[165:166]
	v_fma_f64 v[247:248], v[46:47], s[0:1], v[167:168]
	v_add_f64_e32 v[215:216], v[26:27], v[215:216]
	v_fma_f64 v[167:168], v[46:47], s[0:1], -v[167:168]
	v_add_f64_e32 v[123:124], v[26:27], v[123:124]
	v_add_f64_e32 v[223:224], v[26:27], v[223:224]
	;; [unrolled: 1-line block ×5, first 2 shown]
	v_fma_f64 v[36:37], v[70:71], s[20:21], v[131:132]
	v_fma_f64 v[38:39], v[72:73], s[20:21], -v[133:134]
	v_fma_f64 v[131:132], v[70:71], s[20:21], -v[131:132]
	v_fma_f64 v[133:134], v[72:73], s[20:21], v[133:134]
	v_fma_f64 v[70:71], v[70:71], s[12:13], -v[76:77]
	v_fma_f64 v[72:73], v[72:73], s[12:13], v[78:79]
	;; [unrolled: 2-line block ×3, first 2 shown]
	v_fma_f64 v[111:112], v[46:47], s[22:23], v[163:164]
	v_fma_f64 v[163:164], v[46:47], s[22:23], -v[163:164]
	v_add_f64_e32 v[139:140], v[26:27], v[139:140]
	v_add_f64_e32 v[141:142], v[24:25], v[141:142]
	;; [unrolled: 1-line block ×8, first 2 shown]
	v_mul_f64_e32 v[151:152], s[36:37], v[101:102]
	v_mul_f64_e32 v[99:100], s[34:35], v[99:100]
	;; [unrolled: 1-line block ×16, first 2 shown]
	v_add_f64_e32 v[223:224], v[247:248], v[223:224]
	v_fma_f64 v[247:248], v[68:69], s[6:7], -v[183:184]
	v_add_f64_e32 v[30:31], v[34:35], v[30:31]
	v_add_f64_e32 v[28:29], v[32:33], v[28:29]
	v_fma_f64 v[32:33], v[44:45], s[12:13], -v[113:114]
	v_fma_f64 v[113:114], v[44:45], s[12:13], v[113:114]
	v_add_f64_e32 v[34:35], v[24:25], v[217:218]
	v_fma_f64 v[217:218], v[44:45], s[22:23], -v[171:172]
	v_fma_f64 v[171:172], v[44:45], s[22:23], v[171:172]
	v_add_f64_e32 v[36:37], v[26:27], v[36:37]
	v_add_f64_e32 v[38:39], v[24:25], v[38:39]
	;; [unrolled: 1-line block ×6, first 2 shown]
	v_fma_f64 v[70:71], v[46:47], s[20:21], v[169:170]
	v_fma_f64 v[72:73], v[46:47], s[20:21], -v[169:170]
	v_fma_f64 v[169:170], v[46:47], s[6:7], v[93:94]
	v_fma_f64 v[46:47], v[46:47], s[6:7], -v[93:94]
	v_fma_f64 v[93:94], v[44:45], s[2:3], -v[105:106]
	v_fma_f64 v[105:106], v[44:45], s[2:3], v[105:106]
	v_add_f64_e32 v[78:79], v[78:79], v[115:116]
	v_fma_f64 v[115:116], v[44:45], s[0:1], -v[107:108]
	v_fma_f64 v[107:108], v[44:45], s[0:1], v[107:108]
	v_add_f64_e32 v[111:112], v[111:112], v[219:220]
	v_add_f64_e32 v[123:124], v[163:164], v[123:124]
	v_fma_f64 v[183:184], v[68:69], s[6:7], v[183:184]
	v_add_f64_e32 v[76:77], v[76:77], v[215:216]
	v_fma_f64 v[215:216], v[66:67], s[6:7], v[149:150]
	v_fma_f64 v[149:150], v[66:67], s[6:7], -v[149:150]
	v_fma_f64 v[219:220], v[66:67], s[12:13], v[135:136]
	v_fma_f64 v[135:136], v[66:67], s[12:13], -v[135:136]
	v_fma_f64 v[163:164], v[66:67], s[20:21], v[101:102]
	v_mul_f64_e32 v[209:210], s[28:29], v[64:65]
	v_mul_f64_e32 v[191:192], s[30:31], v[62:63]
	;; [unrolled: 1-line block ×7, first 2 shown]
	v_add_f64_e32 v[22:23], v[30:31], v[22:23]
	v_add_f64_e32 v[20:21], v[28:29], v[20:21]
	v_fma_f64 v[28:29], v[44:45], s[20:21], -v[173:174]
	v_add_f64_e32 v[113:114], v[113:114], v[117:118]
	v_fma_f64 v[117:118], v[74:75], s[2:3], -v[175:176]
	v_fma_f64 v[175:176], v[74:75], s[2:3], v[175:176]
	v_fma_f64 v[30:31], v[44:45], s[20:21], v[173:174]
	v_add_f64_e32 v[217:218], v[217:218], v[221:222]
	v_add_f64_e32 v[125:126], v[171:172], v[125:126]
	v_fma_f64 v[171:172], v[74:75], s[6:7], -v[177:178]
	v_fma_f64 v[173:174], v[44:45], s[6:7], -v[95:96]
	v_fma_f64 v[44:45], v[44:45], s[6:7], v[95:96]
	v_add_f64_e32 v[32:33], v[32:33], v[34:35]
	v_fma_f64 v[177:178], v[74:75], s[6:7], v[177:178]
	v_add_f64_e32 v[36:37], v[245:246], v[36:37]
	v_fma_f64 v[245:246], v[74:75], s[12:13], -v[129:130]
	v_fma_f64 v[129:130], v[74:75], s[12:13], v[129:130]
	v_add_f64_e32 v[38:39], v[93:94], v[38:39]
	v_fma_f64 v[93:94], v[74:75], s[20:21], -v[179:180]
	;; [unrolled: 3-line block ×3, first 2 shown]
	v_fma_f64 v[181:182], v[74:75], s[0:1], v[181:182]
	v_add_f64_e32 v[105:106], v[105:106], v[133:134]
	v_add_f64_e32 v[70:71], v[70:71], v[227:228]
	v_add_f64_e32 v[72:73], v[72:73], v[143:144]
	v_fma_f64 v[34:35], v[66:67], s[0:1], v[151:152]
	v_fma_f64 v[133:134], v[74:75], s[22:23], -v[99:100]
	v_add_f64_e32 v[115:116], v[115:116], v[225:226]
	v_fma_f64 v[74:75], v[74:75], s[22:23], v[99:100]
	v_fma_f64 v[99:100], v[68:69], s[0:1], -v[185:186]
	v_add_f64_e32 v[26:27], v[46:47], v[26:27]
	v_add_f64_e32 v[46:47], v[233:234], v[111:112]
	;; [unrolled: 1-line block ×3, first 2 shown]
	v_fma_f64 v[151:152], v[66:67], s[0:1], -v[151:152]
	v_fma_f64 v[95:96], v[66:67], s[22:23], v[155:156]
	v_fma_f64 v[155:156], v[66:67], s[22:23], -v[155:156]
	v_fma_f64 v[221:222], v[66:67], s[2:3], v[157:158]
	v_add_f64_e32 v[18:19], v[22:23], v[18:19]
	v_add_f64_e32 v[16:17], v[20:21], v[16:17]
	;; [unrolled: 1-line block ×7, first 2 shown]
	v_fma_f64 v[157:158], v[66:67], s[2:3], -v[157:158]
	v_add_f64_e32 v[78:79], v[147:148], v[78:79]
	v_add_f64_e32 v[111:112], v[171:172], v[217:218]
	;; [unrolled: 1-line block ×5, first 2 shown]
	v_fma_f64 v[107:108], v[68:69], s[0:1], v[185:186]
	v_fma_f64 v[117:118], v[68:69], s[22:23], -v[187:188]
	v_fma_f64 v[139:140], v[68:69], s[22:23], v[187:188]
	v_fma_f64 v[141:142], v[68:69], s[12:13], -v[137:138]
	;; [unrolled: 2-line block ×3, first 2 shown]
	v_fma_f64 v[143:144], v[48:49], s[20:21], v[193:194]
	v_add_f64_e32 v[44:45], v[153:154], v[123:124]
	v_add_f64_e32 v[123:124], v[177:178], v[125:126]
	;; [unrolled: 1-line block ×9, first 2 shown]
	v_fma_f64 v[129:130], v[48:49], s[12:13], -v[121:122]
	v_add_f64_e32 v[76:77], v[231:232], v[76:77]
	v_add_f64_e32 v[26:27], v[97:98], v[26:27]
	;; [unrolled: 1-line block ×4, first 2 shown]
	v_fma_f64 v[175:176], v[48:49], s[20:21], -v[193:194]
	v_fma_f64 v[115:116], v[60:61], s[12:13], v[119:120]
	v_fma_f64 v[119:120], v[60:61], s[12:13], -v[119:120]
	v_fma_f64 v[121:122], v[48:49], s[12:13], v[121:122]
	v_add_f64_e32 v[14:15], v[18:19], v[14:15]
	v_add_f64_e32 v[12:13], v[16:17], v[12:13]
	;; [unrolled: 1-line block ×7, first 2 shown]
	v_fma_f64 v[28:29], v[66:67], s[20:21], -v[101:102]
	v_fma_f64 v[66:67], v[68:69], s[2:3], v[189:190]
	v_add_f64_e32 v[30:31], v[181:182], v[30:31]
	v_add_f64_e32 v[46:47], v[99:100], v[111:112]
	v_fma_f64 v[70:71], v[68:69], s[20:21], -v[103:104]
	v_fma_f64 v[68:69], v[68:69], s[20:21], v[103:104]
	v_add_f64_e32 v[24:25], v[74:75], v[24:25]
	v_add_f64_e32 v[133:134], v[133:134], v[145:146]
	;; [unrolled: 1-line block ×3, first 2 shown]
	v_fma_f64 v[111:112], v[48:49], s[0:1], v[205:206]
	v_mul_f64_e32 v[195:196], s[24:25], v[58:59]
	v_fma_f64 v[185:186], v[60:61], s[20:21], -v[191:192]
	v_add_f64_e32 v[78:79], v[149:150], v[78:79]
	v_add_f64_e32 v[44:45], v[151:152], v[44:45]
	;; [unrolled: 1-line block ×8, first 2 shown]
	v_fma_f64 v[107:108], v[60:61], s[0:1], -v[203:204]
	v_fma_f64 v[127:128], v[60:61], s[22:23], v[211:212]
	v_add_f64_e32 v[72:73], v[157:158], v[72:73]
	v_fma_f64 v[139:140], v[60:61], s[22:23], -v[211:212]
	v_add_f64_e32 v[93:94], v[141:142], v[93:94]
	v_fma_f64 v[117:118], v[48:49], s[6:7], -v[209:210]
	v_fma_f64 v[123:124], v[60:61], s[6:7], -v[207:208]
	v_fma_f64 v[125:126], v[48:49], s[6:7], v[209:210]
	v_mul_f64_e32 v[141:142], s[16:17], v[58:59]
	v_fma_f64 v[167:168], v[60:61], s[20:21], v[191:192]
	v_add_f64_e32 v[76:77], v[215:216], v[76:77]
	v_add_f64_e32 v[10:11], v[14:15], v[10:11]
	;; [unrolled: 1-line block ×8, first 2 shown]
	v_fma_f64 v[20:21], v[60:61], s[0:1], v[203:204]
	v_fma_f64 v[22:23], v[48:49], s[0:1], -v[205:206]
	v_fma_f64 v[113:114], v[60:61], s[6:7], v[207:208]
	v_fma_f64 v[135:136], v[48:49], s[22:23], -v[213:214]
	v_add_f64_e32 v[30:31], v[66:67], v[30:31]
	v_fma_f64 v[143:144], v[48:49], s[22:23], v[213:214]
	v_mul_f64_e32 v[137:138], s[18:19], v[58:59]
	v_add_f64_e32 v[46:47], v[129:130], v[46:47]
	v_mul_f64_e32 v[129:130], s[16:17], v[56:57]
	v_mul_f64_e32 v[66:67], s[18:19], v[56:57]
	v_fma_f64 v[145:146], v[60:61], s[2:3], v[62:63]
	v_mul_f64_e32 v[58:59], s[14:15], v[58:59]
	v_fma_f64 v[60:61], v[60:61], s[2:3], -v[62:63]
	v_add_f64_e32 v[26:27], v[28:29], v[26:27]
	v_fma_f64 v[28:29], v[48:49], s[2:3], v[64:65]
	v_mul_f64_e32 v[56:57], s[14:15], v[56:57]
	v_add_f64_e32 v[24:25], v[68:69], v[24:25]
	v_add_f64_e32 v[109:110], v[163:164], v[109:110]
	;; [unrolled: 1-line block ×3, first 2 shown]
	v_fma_f64 v[48:49], v[48:49], s[2:3], -v[64:65]
	v_fma_f64 v[103:104], v[50:51], s[22:23], -v[197:198]
	v_add_f64_e32 v[32:33], v[175:176], v[32:33]
	v_add_f64_e32 v[34:35], v[115:116], v[34:35]
	v_fma_f64 v[115:116], v[54:55], s[20:21], v[199:200]
	v_add_f64_e32 v[72:73], v[139:140], v[72:73]
	v_fma_f64 v[133:134], v[54:55], s[12:13], v[42:43]
	v_fma_f64 v[42:43], v[54:55], s[12:13], -v[42:43]
	v_add_f64_e32 v[93:94], v[117:118], v[93:94]
	v_add_f64_e32 v[44:45], v[119:120], v[44:45]
	;; [unrolled: 1-line block ×3, first 2 shown]
	v_fma_f64 v[68:69], v[54:55], s[20:21], -v[199:200]
	v_fma_f64 v[70:71], v[50:51], s[20:21], v[201:202]
	v_fma_f64 v[131:132], v[54:55], s[22:23], -v[195:196]
	v_fma_f64 v[149:150], v[50:51], s[22:23], v[197:198]
	v_add_f64_e32 v[78:79], v[185:186], v[78:79]
	v_fma_f64 v[101:102], v[54:55], s[22:23], v[195:196]
	v_add_f64_e32 v[76:77], v[167:168], v[76:77]
	v_fma_f64 v[147:148], v[50:51], s[20:21], -v[201:202]
	v_add_f64_e32 v[20:21], v[20:21], v[36:37]
	v_add_f64_e32 v[36:37], v[22:23], v[38:39]
	v_add_f64_e32 v[38:39], v[107:108], v[95:96]
	v_add_f64_e32 v[95:96], v[111:112], v[97:98]
	v_add_f64_e32 v[97:98], v[113:114], v[99:100]
	v_add_f64_e32 v[111:112], v[127:128], v[16:17]
	v_add_f64_e32 v[113:114], v[135:136], v[18:19]
	v_add_f64_e32 v[127:128], v[143:144], v[30:31]
	v_fma_f64 v[135:136], v[50:51], s[12:13], v[40:41]
	v_add_f64_e32 v[99:100], v[123:124], v[12:13]
	v_add_f64_e32 v[107:108], v[125:126], v[14:15]
	v_fma_f64 v[22:23], v[54:55], s[6:7], v[137:138]
	v_fma_f64 v[117:118], v[54:55], s[6:7], -v[137:138]
	v_fma_f64 v[123:124], v[54:55], s[2:3], -v[141:142]
	v_fma_f64 v[137:138], v[50:51], s[2:3], v[129:130]
	v_fma_f64 v[125:126], v[50:51], s[6:7], -v[66:67]
	v_fma_f64 v[66:67], v[50:51], s[6:7], v[66:67]
	v_fma_f64 v[121:122], v[54:55], s[2:3], v[141:142]
	v_fma_f64 v[129:130], v[50:51], s[2:3], -v[129:130]
	v_fma_f64 v[40:41], v[50:51], s[12:13], -v[40:41]
	v_fma_f64 v[139:140], v[54:55], s[0:1], v[58:59]
	v_fma_f64 v[54:55], v[54:55], s[0:1], -v[58:59]
	v_add_f64_e32 v[58:59], v[60:61], v[26:27]
	v_fma_f64 v[60:61], v[50:51], s[0:1], v[56:57]
	v_add_f64_e32 v[141:142], v[28:29], v[24:25]
	v_add_f64_e32 v[74:75], v[10:11], v[6:7]
	;; [unrolled: 1-line block ×4, first 2 shown]
	v_fma_f64 v[56:57], v[50:51], s[0:1], -v[56:57]
	v_add_f64_e32 v[62:63], v[48:49], v[62:63]
	v_add_f64_e32 v[4:5], v[103:104], v[32:33]
	;; [unrolled: 1-line block ×22, first 2 shown]
	v_mul_u32_u24_e32 v54, 0xd0, v88
	v_add_f64_e32 v[48:49], v[60:61], v[141:142]
	v_add_f64_e32 v[2:3], v[74:75], v[2:3]
	;; [unrolled: 1-line block ×4, first 2 shown]
	v_add3_u32 v54, 0, v54, v92
	v_add_f64_e32 v[44:45], v[56:57], v[62:63]
	ds_store_b128 v54, v[32:35] offset:32
	ds_store_b128 v54, v[28:31] offset:48
	;; [unrolled: 1-line block ×11, first 2 shown]
	ds_store_b128 v54, v[0:3]
	ds_store_b128 v54, v[44:47] offset:192
.LBB0_13:
	s_or_b32 exec_lo, exec_lo, s33
	v_mul_u32_u24_e32 v0, 9, v88
	global_wb scope:SCOPE_SE
	s_wait_dscnt 0x0
	s_barrier_signal -1
	s_barrier_wait -1
	global_inv scope:SCOPE_SE
	v_lshlrev_b32_e32 v32, 4, v0
	s_mov_b32 s1, 0x3fee6f0e
	s_mov_b32 s12, 0x4755a5e
	;; [unrolled: 1-line block ×4, first 2 shown]
	s_clause 0x8
	global_load_b128 v[0:3], v32, s[4:5] offset:32
	global_load_b128 v[4:7], v32, s[4:5] offset:64
	;; [unrolled: 1-line block ×4, first 2 shown]
	global_load_b128 v[16:19], v32, s[4:5]
	global_load_b128 v[20:23], v32, s[4:5] offset:16
	global_load_b128 v[24:27], v32, s[4:5] offset:48
	;; [unrolled: 1-line block ×4, first 2 shown]
	ds_load_b128 v[36:39], v91 offset:624
	ds_load_b128 v[40:43], v91 offset:1040
	ds_load_b128 v[44:47], v91 offset:1456
	ds_load_b128 v[48:51], v91 offset:1872
	ds_load_b128 v[54:57], v91 offset:208
	ds_load_b128 v[58:61], v91 offset:416
	s_mov_b32 s4, 0x134454ff
	s_mov_b32 s5, 0xbfee6f0e
	;; [unrolled: 1-line block ×3, first 2 shown]
	s_wait_alu 0xfffe
	s_mov_b32 s2, s12
	s_mov_b32 s6, 0x372fe950
	;; [unrolled: 1-line block ×6, first 2 shown]
	s_wait_alu 0xfffe
	s_mov_b32 s16, s6
	s_mov_b32 s19, 0xbfe9e377
	;; [unrolled: 1-line block ×3, first 2 shown]
	s_wait_loadcnt_dscnt 0x805
	v_mul_f64_e32 v[62:63], v[36:37], v[2:3]
	s_wait_loadcnt_dscnt 0x704
	v_mul_f64_e32 v[64:65], v[40:41], v[6:7]
	;; [unrolled: 2-line block ×5, first 2 shown]
	v_mul_f64_e32 v[2:3], v[38:39], v[2:3]
	v_mul_f64_e32 v[6:7], v[42:43], v[6:7]
	;; [unrolled: 1-line block ×4, first 2 shown]
	s_wait_loadcnt_dscnt 0x300
	v_mul_f64_e32 v[76:77], v[60:61], v[22:23]
	v_mul_f64_e32 v[22:23], v[58:59], v[22:23]
	;; [unrolled: 1-line block ×3, first 2 shown]
	v_fma_f64 v[38:39], v[38:39], v[0:1], -v[62:63]
	v_fma_f64 v[42:43], v[42:43], v[4:5], -v[64:65]
	;; [unrolled: 1-line block ×4, first 2 shown]
	ds_load_b128 v[62:65], v91 offset:832
	ds_load_b128 v[66:69], v91 offset:1248
	;; [unrolled: 1-line block ×3, first 2 shown]
	v_fma_f64 v[36:37], v[36:37], v[0:1], v[2:3]
	v_fma_f64 v[4:5], v[40:41], v[4:5], v[6:7]
	;; [unrolled: 1-line block ×4, first 2 shown]
	v_fma_f64 v[10:11], v[56:57], v[16:17], -v[74:75]
	v_fma_f64 v[12:13], v[58:59], v[20:21], v[76:77]
	v_fma_f64 v[14:15], v[60:61], v[20:21], -v[22:23]
	v_fma_f64 v[16:17], v[54:55], v[16:17], v[18:19]
	s_wait_loadcnt_dscnt 0x202
	v_mul_f64_e32 v[78:79], v[64:65], v[26:27]
	v_mul_f64_e32 v[26:27], v[62:63], v[26:27]
	s_wait_loadcnt_dscnt 0x101
	v_mul_f64_e32 v[92:93], v[68:69], v[30:31]
	s_wait_loadcnt_dscnt 0x0
	v_mul_f64_e32 v[94:95], v[72:73], v[34:35]
	v_mul_f64_e32 v[30:31], v[66:67], v[30:31]
	;; [unrolled: 1-line block ×3, first 2 shown]
	v_add_f64_e32 v[0:1], v[42:43], v[46:47]
	v_add_f64_e32 v[2:3], v[38:39], v[50:51]
	v_add_f64_e64 v[98:99], v[36:37], -v[4:5]
	v_add_f64_e32 v[18:19], v[4:5], v[6:7]
	v_add_f64_e64 v[40:41], v[4:5], -v[6:7]
	v_add_f64_e64 v[100:101], v[8:9], -v[6:7]
	;; [unrolled: 1-line block ×3, first 2 shown]
	v_fma_f64 v[20:21], v[62:63], v[24:25], v[78:79]
	v_fma_f64 v[22:23], v[64:65], v[24:25], -v[26:27]
	v_fma_f64 v[24:25], v[66:67], v[28:29], v[92:93]
	v_fma_f64 v[26:27], v[70:71], v[32:33], v[94:95]
	v_fma_f64 v[28:29], v[68:69], v[28:29], -v[30:31]
	v_fma_f64 v[30:31], v[72:73], v[32:33], -v[34:35]
	v_add_f64_e32 v[32:33], v[36:37], v[8:9]
	v_add_f64_e64 v[34:35], v[36:37], -v[8:9]
	v_add_f64_e64 v[62:63], v[38:39], -v[50:51]
	;; [unrolled: 1-line block ×7, first 2 shown]
	v_fma_f64 v[44:45], v[0:1], -0.5, v[10:11]
	v_fma_f64 v[48:49], v[2:3], -0.5, v[10:11]
	ds_load_b128 v[0:3], v90
	v_add_f64_e32 v[10:11], v[10:11], v[38:39]
	global_wb scope:SCOPE_SE
	s_wait_dscnt 0x0
	v_fma_f64 v[18:19], v[18:19], -0.5, v[16:17]
	s_barrier_signal -1
	s_barrier_wait -1
	global_inv scope:SCOPE_SE
	v_add_f64_e64 v[104:105], v[14:15], -v[22:23]
	v_add_f64_e32 v[54:55], v[20:21], v[24:25]
	v_add_f64_e32 v[56:57], v[12:13], v[26:27]
	;; [unrolled: 1-line block ×4, first 2 shown]
	v_fma_f64 v[32:33], v[32:33], -0.5, v[16:17]
	v_add_f64_e32 v[78:79], v[0:1], v[12:13]
	v_add_f64_e32 v[96:97], v[2:3], v[14:15]
	v_add_f64_e32 v[16:17], v[16:17], v[36:37]
	v_add_f64_e64 v[92:93], v[14:15], -v[30:31]
	v_add_f64_e64 v[36:37], v[4:5], -v[36:37]
	;; [unrolled: 1-line block ×6, first 2 shown]
	v_fma_f64 v[74:75], v[34:35], s[0:1], v[44:45]
	v_fma_f64 v[76:77], v[40:41], s[4:5], v[48:49]
	;; [unrolled: 1-line block ×4, first 2 shown]
	v_add_f64_e32 v[10:11], v[10:11], v[42:43]
	v_fma_f64 v[38:39], v[54:55], -0.5, v[0:1]
	v_add_f64_e64 v[54:55], v[12:13], -v[26:27]
	v_fma_f64 v[0:1], v[56:57], -0.5, v[0:1]
	v_add_f64_e64 v[56:57], v[20:21], -v[24:25]
	v_fma_f64 v[58:59], v[58:59], -0.5, v[2:3]
	v_fma_f64 v[2:3], v[60:61], -0.5, v[2:3]
	v_add_f64_e32 v[60:61], v[64:65], v[66:67]
	v_add_f64_e32 v[64:65], v[68:69], v[70:71]
	v_fma_f64 v[66:67], v[62:63], s[4:5], v[18:19]
	v_fma_f64 v[18:19], v[62:63], s[0:1], v[18:19]
	;; [unrolled: 1-line block ×4, first 2 shown]
	v_add_f64_e32 v[22:23], v[96:97], v[22:23]
	v_add_f64_e32 v[4:5], v[16:17], v[4:5]
	;; [unrolled: 1-line block ×4, first 2 shown]
	v_fma_f64 v[70:71], v[40:41], s[2:3], v[74:75]
	v_fma_f64 v[74:75], v[34:35], s[2:3], v[76:77]
	;; [unrolled: 1-line block ×4, first 2 shown]
	v_add_f64_e64 v[44:45], v[12:13], -v[20:21]
	v_add_f64_e64 v[12:13], v[20:21], -v[12:13]
	v_add_f64_e32 v[20:21], v[78:79], v[20:21]
	v_add_f64_e64 v[48:49], v[26:27], -v[24:25]
	v_add_f64_e64 v[76:77], v[24:25], -v[26:27]
	v_add_f64_e32 v[14:15], v[14:15], v[108:109]
	v_fma_f64 v[42:43], v[92:93], s[4:5], v[38:39]
	v_fma_f64 v[38:39], v[92:93], s[0:1], v[38:39]
	;; [unrolled: 1-line block ×12, first 2 shown]
	v_add_f64_e32 v[22:23], v[22:23], v[28:29]
	v_add_f64_e32 v[4:5], v[4:5], v[6:7]
	;; [unrolled: 1-line block ×3, first 2 shown]
	v_fma_f64 v[62:63], v[60:61], s[6:7], v[70:71]
	v_fma_f64 v[70:71], v[64:65], s[6:7], v[74:75]
	;; [unrolled: 1-line block ×4, first 2 shown]
	v_add_f64_e32 v[20:21], v[20:21], v[24:25]
	v_add_f64_e32 v[44:45], v[44:45], v[48:49]
	;; [unrolled: 1-line block ×4, first 2 shown]
	v_fma_f64 v[10:11], v[94:95], s[12:13], v[42:43]
	v_fma_f64 v[24:25], v[94:95], s[2:3], v[38:39]
	;; [unrolled: 1-line block ×12, first 2 shown]
	v_add_f64_e32 v[22:23], v[22:23], v[30:31]
	v_add_f64_e32 v[4:5], v[4:5], v[8:9]
	;; [unrolled: 1-line block ×3, first 2 shown]
	v_mul_f64_e32 v[36:37], s[12:13], v[62:63]
	v_mul_f64_e32 v[62:63], s[14:15], v[62:63]
	;; [unrolled: 1-line block ×5, first 2 shown]
	s_wait_alu 0xfffe
	v_mul_f64_e32 v[34:35], s[16:17], v[34:35]
	v_mul_f64_e32 v[60:61], s[12:13], v[40:41]
	;; [unrolled: 1-line block ×3, first 2 shown]
	v_add_f64_e32 v[20:21], v[20:21], v[26:27]
	v_fma_f64 v[26:27], v[44:45], s[6:7], v[10:11]
	v_fma_f64 v[30:31], v[44:45], s[6:7], v[24:25]
	;; [unrolled: 1-line block ×8, first 2 shown]
	v_add_f64_e32 v[2:3], v[22:23], v[6:7]
	v_add_f64_e64 v[6:7], v[22:23], -v[6:7]
	v_fma_f64 v[24:25], v[54:55], s[14:15], v[36:37]
	v_fma_f64 v[54:55], v[54:55], s[2:3], v[62:63]
	;; [unrolled: 1-line block ×8, first 2 shown]
	v_add_f64_e32 v[0:1], v[20:21], v[4:5]
	v_add_f64_e64 v[4:5], v[20:21], -v[4:5]
	v_add_f64_e32 v[8:9], v[26:27], v[24:25]
	v_add_f64_e32 v[10:11], v[38:39], v[54:55]
	;; [unrolled: 1-line block ×8, first 2 shown]
	v_add_f64_e64 v[24:25], v[26:27], -v[24:25]
	v_add_f64_e64 v[26:27], v[38:39], -v[54:55]
	;; [unrolled: 1-line block ×8, first 2 shown]
	ds_store_b128 v91, v[0:3]
	ds_store_b128 v91, v[8:11] offset:208
	ds_store_b128 v91, v[12:15] offset:416
	;; [unrolled: 1-line block ×9, first 2 shown]
	global_wb scope:SCOPE_SE
	s_wait_dscnt 0x0
	s_barrier_signal -1
	s_barrier_wait -1
	global_inv scope:SCOPE_SE
	s_and_saveexec_b32 s0, vcc_lo
	s_cbranch_execz .LBB0_15
; %bb.14:
	v_mad_co_u64_u32 v[8:9], null, s8, v88, 0
	v_mad_co_u64_u32 v[10:11], null, s8, v89, 0
	;; [unrolled: 1-line block ×3, first 2 shown]
	v_add_co_u32 v31, vcc_lo, s10, v52
	s_delay_alu instid0(VALU_DEP_4) | instskip(SKIP_3) | instid1(VALU_DEP_1)
	v_mov_b32_e32 v0, v9
	s_wait_alu 0xfffd
	v_add_co_ci_u32_e32 v32, vcc_lo, s11, v53, vcc_lo
	v_mov_b32_e32 v1, v11
	v_mad_co_u64_u32 v[14:15], null, s9, v88, v[0:1]
	v_mad_co_u64_u32 v[15:16], null, s9, v89, v[1:2]
	ds_load_b128 v[0:3], v90
	ds_load_b128 v[4:7], v90 offset:208
	v_mad_co_u64_u32 v[16:17], null, s8, v85, 0
	v_mov_b32_e32 v9, v14
	v_mad_co_u64_u32 v[13:14], null, s9, v87, v[13:14]
	v_mov_b32_e32 v11, v15
	v_mad_co_u64_u32 v[14:15], null, s8, v86, 0
	s_delay_alu instid0(VALU_DEP_4) | instskip(NEXT) | instid1(VALU_DEP_3)
	v_lshlrev_b64_e32 v[8:9], 4, v[8:9]
	v_lshlrev_b64_e32 v[18:19], 4, v[10:11]
	;; [unrolled: 1-line block ×3, first 2 shown]
	s_delay_alu instid0(VALU_DEP_3) | instskip(SKIP_1) | instid1(VALU_DEP_4)
	v_add_co_u32 v20, vcc_lo, v31, v8
	s_wait_alu 0xfffd
	v_add_co_ci_u32_e32 v21, vcc_lo, v32, v9, vcc_lo
	ds_load_b128 v[8:11], v90 offset:416
	v_add_co_u32 v18, vcc_lo, v31, v18
	s_wait_alu 0xfffd
	v_add_co_ci_u32_e32 v19, vcc_lo, v32, v19, vcc_lo
	s_wait_dscnt 0x2
	global_store_b128 v[20:21], v[0:3], off
	s_wait_dscnt 0x1
	global_store_b128 v[18:19], v[4:7], off
	v_mad_co_u64_u32 v[22:23], null, s9, v85, v[17:18]
	v_mad_co_u64_u32 v[23:24], null, s9, v86, v[15:16]
	v_add_co_u32 v4, vcc_lo, v31, v12
	s_wait_alu 0xfffd
	v_add_co_ci_u32_e32 v5, vcc_lo, v32, v13, vcc_lo
	v_mad_co_u64_u32 v[12:13], null, s8, v84, 0
	s_delay_alu instid0(VALU_DEP_4)
	v_mov_b32_e32 v15, v23
	v_mov_b32_e32 v17, v22
	s_wait_dscnt 0x0
	global_store_b128 v[4:5], v[8:11], off
	ds_load_b128 v[0:3], v90 offset:624
	ds_load_b128 v[4:7], v90 offset:832
	v_lshlrev_b64_e32 v[10:11], 4, v[14:15]
	v_mad_co_u64_u32 v[14:15], null, s8, v83, 0
	v_lshlrev_b64_e32 v[8:9], 4, v[16:17]
	v_mad_co_u64_u32 v[20:21], null, s8, v82, 0
	v_mad_co_u64_u32 v[22:23], null, s8, v80, 0
	s_delay_alu instid0(VALU_DEP_4) | instskip(SKIP_4) | instid1(VALU_DEP_3)
	v_mad_co_u64_u32 v[16:17], null, s9, v84, v[13:14]
	v_mov_b32_e32 v13, v15
	v_add_co_u32 v8, vcc_lo, v31, v8
	s_wait_alu 0xfffd
	v_add_co_ci_u32_e32 v9, vcc_lo, v32, v9, vcc_lo
	v_mad_co_u64_u32 v[17:18], null, s9, v83, v[13:14]
	v_add_co_u32 v10, vcc_lo, v31, v10
	s_wait_alu 0xfffd
	v_add_co_ci_u32_e32 v11, vcc_lo, v32, v11, vcc_lo
	v_mov_b32_e32 v13, v16
	v_mad_co_u64_u32 v[18:19], null, s8, v81, 0
	v_mov_b32_e32 v15, v17
	s_wait_dscnt 0x1
	global_store_b128 v[8:9], v[0:3], off
	s_wait_dscnt 0x0
	global_store_b128 v[10:11], v[4:7], off
	v_lshlrev_b64_e32 v[4:5], 4, v[12:13]
	ds_load_b128 v[0:3], v90 offset:1040
	v_lshlrev_b64_e32 v[7:8], 4, v[14:15]
	v_mov_b32_e32 v6, v19
	v_add_co_u32 v24, vcc_lo, v31, v4
	s_wait_alu 0xfffd
	v_add_co_ci_u32_e32 v25, vcc_lo, v32, v5, vcc_lo
	s_delay_alu instid0(VALU_DEP_3) | instskip(SKIP_4) | instid1(VALU_DEP_3)
	v_mad_co_u64_u32 v[5:6], null, s9, v81, v[6:7]
	v_mov_b32_e32 v4, v21
	v_add_co_u32 v26, vcc_lo, v31, v7
	s_wait_alu 0xfffd
	v_add_co_ci_u32_e32 v27, vcc_lo, v32, v8, vcc_lo
	v_mad_co_u64_u32 v[9:10], null, s9, v82, v[4:5]
	v_dual_mov_b32 v4, v23 :: v_dual_mov_b32 v19, v5
	s_delay_alu instid0(VALU_DEP_1) | instskip(NEXT) | instid1(VALU_DEP_3)
	v_mad_co_u64_u32 v[28:29], null, s9, v80, v[4:5]
	v_mov_b32_e32 v21, v9
	ds_load_b128 v[4:7], v90 offset:1248
	ds_load_b128 v[8:11], v90 offset:1456
	v_lshlrev_b64_e32 v[29:30], 4, v[18:19]
	ds_load_b128 v[12:15], v90 offset:1664
	ds_load_b128 v[16:19], v90 offset:1872
	v_lshlrev_b64_e32 v[20:21], 4, v[20:21]
	v_mov_b32_e32 v23, v28
	v_add_co_u32 v28, vcc_lo, v31, v29
	s_wait_alu 0xfffd
	v_add_co_ci_u32_e32 v29, vcc_lo, v32, v30, vcc_lo
	s_delay_alu instid0(VALU_DEP_3) | instskip(SKIP_3) | instid1(VALU_DEP_3)
	v_lshlrev_b64_e32 v[22:23], 4, v[22:23]
	v_add_co_u32 v20, vcc_lo, v31, v20
	s_wait_alu 0xfffd
	v_add_co_ci_u32_e32 v21, vcc_lo, v32, v21, vcc_lo
	v_add_co_u32 v22, vcc_lo, v31, v22
	s_wait_alu 0xfffd
	v_add_co_ci_u32_e32 v23, vcc_lo, v32, v23, vcc_lo
	s_wait_dscnt 0x4
	global_store_b128 v[24:25], v[0:3], off
	s_wait_dscnt 0x3
	global_store_b128 v[26:27], v[4:7], off
	;; [unrolled: 2-line block ×5, first 2 shown]
.LBB0_15:
	s_nop 0
	s_sendmsg sendmsg(MSG_DEALLOC_VGPRS)
	s_endpgm
	.section	.rodata,"a",@progbits
	.p2align	6, 0x0
	.amdhsa_kernel fft_rtc_back_len130_factors_13_10_wgs_52_tpt_13_dp_ip_CI_sbrr_dirReg
		.amdhsa_group_segment_fixed_size 0
		.amdhsa_private_segment_fixed_size 0
		.amdhsa_kernarg_size 88
		.amdhsa_user_sgpr_count 2
		.amdhsa_user_sgpr_dispatch_ptr 0
		.amdhsa_user_sgpr_queue_ptr 0
		.amdhsa_user_sgpr_kernarg_segment_ptr 1
		.amdhsa_user_sgpr_dispatch_id 0
		.amdhsa_user_sgpr_private_segment_size 0
		.amdhsa_wavefront_size32 1
		.amdhsa_uses_dynamic_stack 0
		.amdhsa_enable_private_segment 0
		.amdhsa_system_sgpr_workgroup_id_x 1
		.amdhsa_system_sgpr_workgroup_id_y 0
		.amdhsa_system_sgpr_workgroup_id_z 0
		.amdhsa_system_sgpr_workgroup_info 0
		.amdhsa_system_vgpr_workitem_id 0
		.amdhsa_next_free_vgpr 249
		.amdhsa_next_free_sgpr 42
		.amdhsa_reserve_vcc 1
		.amdhsa_float_round_mode_32 0
		.amdhsa_float_round_mode_16_64 0
		.amdhsa_float_denorm_mode_32 3
		.amdhsa_float_denorm_mode_16_64 3
		.amdhsa_fp16_overflow 0
		.amdhsa_workgroup_processor_mode 1
		.amdhsa_memory_ordered 1
		.amdhsa_forward_progress 0
		.amdhsa_round_robin_scheduling 0
		.amdhsa_exception_fp_ieee_invalid_op 0
		.amdhsa_exception_fp_denorm_src 0
		.amdhsa_exception_fp_ieee_div_zero 0
		.amdhsa_exception_fp_ieee_overflow 0
		.amdhsa_exception_fp_ieee_underflow 0
		.amdhsa_exception_fp_ieee_inexact 0
		.amdhsa_exception_int_div_zero 0
	.end_amdhsa_kernel
	.text
.Lfunc_end0:
	.size	fft_rtc_back_len130_factors_13_10_wgs_52_tpt_13_dp_ip_CI_sbrr_dirReg, .Lfunc_end0-fft_rtc_back_len130_factors_13_10_wgs_52_tpt_13_dp_ip_CI_sbrr_dirReg
                                        ; -- End function
	.section	.AMDGPU.csdata,"",@progbits
; Kernel info:
; codeLenInByte = 7480
; NumSgprs: 44
; NumVgprs: 249
; ScratchSize: 0
; MemoryBound: 0
; FloatMode: 240
; IeeeMode: 1
; LDSByteSize: 0 bytes/workgroup (compile time only)
; SGPRBlocks: 5
; VGPRBlocks: 31
; NumSGPRsForWavesPerEU: 44
; NumVGPRsForWavesPerEU: 249
; Occupancy: 5
; WaveLimiterHint : 1
; COMPUTE_PGM_RSRC2:SCRATCH_EN: 0
; COMPUTE_PGM_RSRC2:USER_SGPR: 2
; COMPUTE_PGM_RSRC2:TRAP_HANDLER: 0
; COMPUTE_PGM_RSRC2:TGID_X_EN: 1
; COMPUTE_PGM_RSRC2:TGID_Y_EN: 0
; COMPUTE_PGM_RSRC2:TGID_Z_EN: 0
; COMPUTE_PGM_RSRC2:TIDIG_COMP_CNT: 0
	.text
	.p2alignl 7, 3214868480
	.fill 96, 4, 3214868480
	.type	__hip_cuid_a7c87657d90f099c,@object ; @__hip_cuid_a7c87657d90f099c
	.section	.bss,"aw",@nobits
	.globl	__hip_cuid_a7c87657d90f099c
__hip_cuid_a7c87657d90f099c:
	.byte	0                               ; 0x0
	.size	__hip_cuid_a7c87657d90f099c, 1

	.ident	"AMD clang version 19.0.0git (https://github.com/RadeonOpenCompute/llvm-project roc-6.4.0 25133 c7fe45cf4b819c5991fe208aaa96edf142730f1d)"
	.section	".note.GNU-stack","",@progbits
	.addrsig
	.addrsig_sym __hip_cuid_a7c87657d90f099c
	.amdgpu_metadata
---
amdhsa.kernels:
  - .args:
      - .actual_access:  read_only
        .address_space:  global
        .offset:         0
        .size:           8
        .value_kind:     global_buffer
      - .offset:         8
        .size:           8
        .value_kind:     by_value
      - .actual_access:  read_only
        .address_space:  global
        .offset:         16
        .size:           8
        .value_kind:     global_buffer
      - .actual_access:  read_only
        .address_space:  global
        .offset:         24
        .size:           8
        .value_kind:     global_buffer
      - .offset:         32
        .size:           8
        .value_kind:     by_value
      - .actual_access:  read_only
        .address_space:  global
        .offset:         40
        .size:           8
        .value_kind:     global_buffer
      - .actual_access:  read_only
        .address_space:  global
        .offset:         48
        .size:           8
        .value_kind:     global_buffer
      - .offset:         56
        .size:           4
        .value_kind:     by_value
      - .actual_access:  read_only
        .address_space:  global
        .offset:         64
        .size:           8
        .value_kind:     global_buffer
      - .actual_access:  read_only
        .address_space:  global
        .offset:         72
        .size:           8
        .value_kind:     global_buffer
      - .address_space:  global
        .offset:         80
        .size:           8
        .value_kind:     global_buffer
    .group_segment_fixed_size: 0
    .kernarg_segment_align: 8
    .kernarg_segment_size: 88
    .language:       OpenCL C
    .language_version:
      - 2
      - 0
    .max_flat_workgroup_size: 52
    .name:           fft_rtc_back_len130_factors_13_10_wgs_52_tpt_13_dp_ip_CI_sbrr_dirReg
    .private_segment_fixed_size: 0
    .sgpr_count:     44
    .sgpr_spill_count: 0
    .symbol:         fft_rtc_back_len130_factors_13_10_wgs_52_tpt_13_dp_ip_CI_sbrr_dirReg.kd
    .uniform_work_group_size: 1
    .uses_dynamic_stack: false
    .vgpr_count:     249
    .vgpr_spill_count: 0
    .wavefront_size: 32
    .workgroup_processor_mode: 1
amdhsa.target:   amdgcn-amd-amdhsa--gfx1201
amdhsa.version:
  - 1
  - 2
...

	.end_amdgpu_metadata
